;; amdgpu-corpus repo=zjin-lcf/HeCBench kind=compiled arch=gfx906 opt=O3
	.amdgcn_target "amdgcn-amd-amdhsa--gfx906"
	.amdhsa_code_object_version 6
	.text
	.protected	_Z10findRangeKlPK5knodelPlS2_S2_S2_PKiS4_PiS5_ ; -- Begin function _Z10findRangeKlPK5knodelPlS2_S2_S2_PKiS4_PiS5_
	.globl	_Z10findRangeKlPK5knodelPlS2_S2_S2_PKiS4_PiS5_
	.p2align	8
	.type	_Z10findRangeKlPK5knodelPlS2_S2_S2_PKiS4_PiS5_,@function
_Z10findRangeKlPK5knodelPlS2_S2_S2_PKiS4_PiS5_: ; @_Z10findRangeKlPK5knodelPlS2_S2_S2_PKiS4_PiS5_
; %bb.0:
	s_load_dwordx4 s[8:11], s[4:5], 0x0
	s_load_dwordx2 s[18:19], s[4:5], 0x18
	s_load_dwordx4 s[0:3], s[4:5], 0x38
	s_load_dwordx2 s[16:17], s[4:5], 0x28
	s_mov_b64 s[20:21], 0
	s_waitcnt lgkmcnt(0)
	v_cmp_gt_i64_e64 s[12:13], s[8:9], 0
	s_ashr_i32 s7, s6, 31
	s_and_b64 vcc, exec, s[12:13]
	s_cbranch_vccnz .LBB0_2
; %bb.1:
	s_lshl_b64 s[12:13], s[6:7], 2
	s_add_u32 s12, s0, s12
	s_addc_u32 s13, s1, s13
	s_load_dword s33, s[12:13], 0x0
	v_mov_b32_e32 v1, 0
	s_load_dwordx4 s[12:15], s[4:5], 0x48
	s_andn2_b64 vcc, exec, s[20:21]
	s_cbranch_vccz .LBB0_3
	s_branch .LBB0_15
.LBB0_2:
                                        ; implicit-def: $sgpr33
	s_load_dwordx4 s[12:15], s[4:5], 0x48
.LBB0_3:
	s_lshl_b64 s[28:29], s[6:7], 3
	s_load_dwordx2 s[22:23], s[4:5], 0x20
	s_load_dwordx2 s[26:27], s[4:5], 0x30
	;; [unrolled: 1-line block ×3, first 2 shown]
	s_add_u32 s4, s18, s28
	s_addc_u32 s5, s19, s29
	s_lshl_b64 s[30:31], s[6:7], 2
	s_add_u32 s36, s0, s30
	s_addc_u32 s37, s1, s31
	s_waitcnt lgkmcnt(0)
	s_add_u32 s22, s22, s28
	s_addc_u32 s23, s23, s29
	s_add_u32 s24, s16, s28
	s_addc_u32 s25, s17, s29
	;; [unrolled: 2-line block ×3, first 2 shown]
	s_load_dword s33, s[36:37], 0x0
	s_load_dword s34, s[30:31], 0x0
	v_lshlrev_b32_e32 v2, 2, v0
	s_add_u32 s26, s26, s28
	v_mov_b32_e32 v3, s11
	v_add_co_u32_e32 v2, vcc, s10, v2
	v_mov_b32_e32 v1, 0
	s_addc_u32 s27, s27, s29
	v_cmp_eq_u32_e64 s[0:1], 0, v0
	v_addc_co_u32_e32 v3, vcc, 0, v3, vcc
	s_mov_b64 s[28:29], 0
	s_movk_i32 s35, 0x814
	s_branch .LBB0_5
.LBB0_4:                                ;   in Loop: Header=BB0_5 Depth=1
	s_or_b64 exec, exec, s[30:31]
	s_add_u32 s28, s28, 1
	s_addc_u32 s29, s29, 0
	v_mov_b32_e32 v4, s28
	v_mov_b32_e32 v5, s29
	v_cmp_le_u64_e32 vcc, s[8:9], v[4:5]
	s_waitcnt vmcnt(0)
	s_barrier
	s_cbranch_vccnz .LBB0_15
.LBB0_5:                                ; =>This Inner Loop Header: Depth=1
	global_load_dwordx2 v[4:5], v1, s[4:5]
	s_waitcnt vmcnt(0)
	v_mul_lo_u32 v6, v5, s35
	v_mad_u64_u32 v[4:5], s[30:31], v4, s35, v[2:3]
	v_add_u32_e32 v5, v6, v5
	global_load_dword v6, v[4:5], off offset:1032
	s_waitcnt vmcnt(0) lgkmcnt(0)
	v_cmp_ge_i32_e32 vcc, s33, v6
	s_and_saveexec_b64 s[30:31], vcc
	s_cbranch_execz .LBB0_9
; %bb.6:                                ;   in Loop: Header=BB0_5 Depth=1
	global_load_dword v6, v[4:5], off offset:1036
	s_waitcnt vmcnt(0)
	v_cmp_lt_i32_e32 vcc, s33, v6
	s_and_b64 exec, exec, vcc
	s_cbranch_execz .LBB0_9
; %bb.7:                                ;   in Loop: Header=BB0_5 Depth=1
	global_load_dword v4, v[4:5], off offset:4
	s_waitcnt vmcnt(0)
	v_ashrrev_i32_e32 v5, 31, v4
	v_cmp_gt_i64_e32 vcc, s[20:21], v[4:5]
	s_and_b64 exec, exec, vcc
	s_cbranch_execz .LBB0_9
; %bb.8:                                ;   in Loop: Header=BB0_5 Depth=1
	global_store_dwordx2 v1, v[4:5], s[22:23]
.LBB0_9:                                ;   in Loop: Header=BB0_5 Depth=1
	s_or_b64 exec, exec, s[30:31]
	global_load_dwordx2 v[4:5], v1, s[24:25]
	s_waitcnt vmcnt(0)
	v_mul_lo_u32 v6, v5, s35
	v_mad_u64_u32 v[4:5], s[30:31], v4, s35, v[2:3]
	v_add_u32_e32 v5, v6, v5
	global_load_dword v6, v[4:5], off offset:1032
	s_waitcnt vmcnt(0)
	v_cmp_ge_i32_e32 vcc, s34, v6
	s_and_saveexec_b64 s[30:31], vcc
	s_cbranch_execz .LBB0_13
; %bb.10:                               ;   in Loop: Header=BB0_5 Depth=1
	global_load_dword v6, v[4:5], off offset:1036
	s_waitcnt vmcnt(0)
	v_cmp_lt_i32_e32 vcc, s34, v6
	s_and_b64 exec, exec, vcc
	s_cbranch_execz .LBB0_13
; %bb.11:                               ;   in Loop: Header=BB0_5 Depth=1
	global_load_dword v4, v[4:5], off offset:4
	s_waitcnt vmcnt(0)
	v_ashrrev_i32_e32 v5, 31, v4
	v_cmp_gt_i64_e32 vcc, s[20:21], v[4:5]
	s_and_b64 exec, exec, vcc
	s_cbranch_execz .LBB0_13
; %bb.12:                               ;   in Loop: Header=BB0_5 Depth=1
	global_store_dwordx2 v1, v[4:5], s[26:27]
.LBB0_13:                               ;   in Loop: Header=BB0_5 Depth=1
	s_or_b64 exec, exec, s[30:31]
	s_waitcnt vmcnt(0)
	s_barrier
	s_and_saveexec_b64 s[30:31], s[0:1]
	s_cbranch_execz .LBB0_4
; %bb.14:                               ;   in Loop: Header=BB0_5 Depth=1
	global_load_dwordx2 v[4:5], v1, s[22:23]
	global_load_dwordx2 v[6:7], v1, s[26:27]
	s_waitcnt vmcnt(1)
	global_store_dwordx2 v1, v[4:5], s[4:5]
	s_waitcnt vmcnt(1)
	global_store_dwordx2 v1, v[6:7], s[24:25]
	s_branch .LBB0_4
.LBB0_15:
	s_lshl_b64 s[0:1], s[6:7], 3
	s_add_u32 s4, s18, s0
	s_addc_u32 s5, s19, s1
	v_mov_b32_e32 v4, 0
	global_load_dwordx2 v[2:3], v4, s[4:5]
	s_movk_i32 s8, 0x814
	v_mov_b32_e32 v6, s11
	v_lshlrev_b64 v[0:1], 2, v[0:1]
	s_waitcnt vmcnt(0)
	v_mul_lo_u32 v3, v3, s8
	v_mul_hi_u32 v5, v2, s8
	v_mul_lo_u32 v2, v2, s8
	v_add_u32_e32 v3, v5, v3
	v_add_co_u32_e32 v2, vcc, s10, v2
	v_addc_co_u32_e32 v3, vcc, v6, v3, vcc
	v_add_co_u32_e32 v2, vcc, v2, v0
	v_addc_co_u32_e32 v3, vcc, v3, v1, vcc
	global_load_dword v5, v[2:3], off offset:1032
	s_waitcnt vmcnt(0) lgkmcnt(0)
	v_cmp_eq_u32_e32 vcc, s33, v5
	s_and_saveexec_b64 s[4:5], vcc
	s_cbranch_execz .LBB0_17
; %bb.16:
	global_load_dword v2, v[2:3], off offset:4
	s_lshl_b64 s[18:19], s[6:7], 2
	s_add_u32 s18, s12, s18
	s_addc_u32 s19, s13, s19
	s_waitcnt vmcnt(0)
	global_store_dword v4, v2, s[18:19]
.LBB0_17:
	s_or_b64 exec, exec, s[4:5]
	s_add_u32 s0, s16, s0
	s_addc_u32 s1, s17, s1
	s_waitcnt vmcnt(0)
	s_barrier
	global_load_dwordx2 v[2:3], v4, s[0:1]
	v_mov_b32_e32 v5, s11
	s_lshl_b64 s[0:1], s[6:7], 2
	s_add_u32 s2, s2, s0
	s_addc_u32 s3, s3, s1
	s_load_dword s2, s[2:3], 0x0
	s_waitcnt vmcnt(0)
	v_mul_lo_u32 v3, v3, s8
	v_mul_hi_u32 v4, v2, s8
	v_mul_lo_u32 v2, v2, s8
	v_add_u32_e32 v3, v4, v3
	v_add_co_u32_e32 v2, vcc, s10, v2
	v_addc_co_u32_e32 v3, vcc, v5, v3, vcc
	v_add_co_u32_e32 v0, vcc, v2, v0
	v_addc_co_u32_e32 v1, vcc, v3, v1, vcc
	global_load_dword v2, v[0:1], off offset:1032
	s_waitcnt vmcnt(0) lgkmcnt(0)
	v_cmp_eq_u32_e32 vcc, s2, v2
	s_and_saveexec_b64 s[2:3], vcc
	s_cbranch_execz .LBB0_19
; %bb.18:
	s_add_u32 s2, s12, s0
	global_load_dword v0, v[0:1], off offset:4
	s_addc_u32 s3, s13, s1
	v_mov_b32_e32 v1, 0
	global_load_dword v2, v1, s[2:3]
	s_add_u32 s0, s14, s0
	s_addc_u32 s1, s15, s1
	s_waitcnt vmcnt(0)
	v_sub_u32_e32 v0, v0, v2
	v_add_u32_e32 v0, 1, v0
	global_store_dword v1, v0, s[0:1]
.LBB0_19:
	s_endpgm
	.section	.rodata,"a",@progbits
	.p2align	6, 0x0
	.amdhsa_kernel _Z10findRangeKlPK5knodelPlS2_S2_S2_PKiS4_PiS5_
		.amdhsa_group_segment_fixed_size 0
		.amdhsa_private_segment_fixed_size 0
		.amdhsa_kernarg_size 88
		.amdhsa_user_sgpr_count 6
		.amdhsa_user_sgpr_private_segment_buffer 1
		.amdhsa_user_sgpr_dispatch_ptr 0
		.amdhsa_user_sgpr_queue_ptr 0
		.amdhsa_user_sgpr_kernarg_segment_ptr 1
		.amdhsa_user_sgpr_dispatch_id 0
		.amdhsa_user_sgpr_flat_scratch_init 0
		.amdhsa_user_sgpr_private_segment_size 0
		.amdhsa_uses_dynamic_stack 0
		.amdhsa_system_sgpr_private_segment_wavefront_offset 0
		.amdhsa_system_sgpr_workgroup_id_x 1
		.amdhsa_system_sgpr_workgroup_id_y 0
		.amdhsa_system_sgpr_workgroup_id_z 0
		.amdhsa_system_sgpr_workgroup_info 0
		.amdhsa_system_vgpr_workitem_id 0
		.amdhsa_next_free_vgpr 8
		.amdhsa_next_free_sgpr 38
		.amdhsa_reserve_vcc 1
		.amdhsa_reserve_flat_scratch 0
		.amdhsa_float_round_mode_32 0
		.amdhsa_float_round_mode_16_64 0
		.amdhsa_float_denorm_mode_32 3
		.amdhsa_float_denorm_mode_16_64 3
		.amdhsa_dx10_clamp 1
		.amdhsa_ieee_mode 1
		.amdhsa_fp16_overflow 0
		.amdhsa_exception_fp_ieee_invalid_op 0
		.amdhsa_exception_fp_denorm_src 0
		.amdhsa_exception_fp_ieee_div_zero 0
		.amdhsa_exception_fp_ieee_overflow 0
		.amdhsa_exception_fp_ieee_underflow 0
		.amdhsa_exception_fp_ieee_inexact 0
		.amdhsa_exception_int_div_zero 0
	.end_amdhsa_kernel
	.text
.Lfunc_end0:
	.size	_Z10findRangeKlPK5knodelPlS2_S2_S2_PKiS4_PiS5_, .Lfunc_end0-_Z10findRangeKlPK5knodelPlS2_S2_S2_PKiS4_PiS5_
                                        ; -- End function
	.set _Z10findRangeKlPK5knodelPlS2_S2_S2_PKiS4_PiS5_.num_vgpr, 8
	.set _Z10findRangeKlPK5knodelPlS2_S2_S2_PKiS4_PiS5_.num_agpr, 0
	.set _Z10findRangeKlPK5knodelPlS2_S2_S2_PKiS4_PiS5_.numbered_sgpr, 38
	.set _Z10findRangeKlPK5knodelPlS2_S2_S2_PKiS4_PiS5_.num_named_barrier, 0
	.set _Z10findRangeKlPK5knodelPlS2_S2_S2_PKiS4_PiS5_.private_seg_size, 0
	.set _Z10findRangeKlPK5knodelPlS2_S2_S2_PKiS4_PiS5_.uses_vcc, 1
	.set _Z10findRangeKlPK5knodelPlS2_S2_S2_PKiS4_PiS5_.uses_flat_scratch, 0
	.set _Z10findRangeKlPK5knodelPlS2_S2_S2_PKiS4_PiS5_.has_dyn_sized_stack, 0
	.set _Z10findRangeKlPK5knodelPlS2_S2_S2_PKiS4_PiS5_.has_recursion, 0
	.set _Z10findRangeKlPK5knodelPlS2_S2_S2_PKiS4_PiS5_.has_indirect_call, 0
	.section	.AMDGPU.csdata,"",@progbits
; Kernel info:
; codeLenInByte = 916
; TotalNumSgprs: 42
; NumVgprs: 8
; ScratchSize: 0
; MemoryBound: 1
; FloatMode: 240
; IeeeMode: 1
; LDSByteSize: 0 bytes/workgroup (compile time only)
; SGPRBlocks: 5
; VGPRBlocks: 1
; NumSGPRsForWavesPerEU: 42
; NumVGPRsForWavesPerEU: 8
; Occupancy: 10
; WaveLimiterHint : 1
; COMPUTE_PGM_RSRC2:SCRATCH_EN: 0
; COMPUTE_PGM_RSRC2:USER_SGPR: 6
; COMPUTE_PGM_RSRC2:TRAP_HANDLER: 0
; COMPUTE_PGM_RSRC2:TGID_X_EN: 1
; COMPUTE_PGM_RSRC2:TGID_Y_EN: 0
; COMPUTE_PGM_RSRC2:TGID_Z_EN: 0
; COMPUTE_PGM_RSRC2:TIDIG_COMP_CNT: 0
	.section	.AMDGPU.gpr_maximums,"",@progbits
	.set amdgpu.max_num_vgpr, 0
	.set amdgpu.max_num_agpr, 0
	.set amdgpu.max_num_sgpr, 0
	.section	.AMDGPU.csdata,"",@progbits
	.type	__hip_cuid_3a6a42bcbc2596fe,@object ; @__hip_cuid_3a6a42bcbc2596fe
	.section	.bss,"aw",@nobits
	.globl	__hip_cuid_3a6a42bcbc2596fe
__hip_cuid_3a6a42bcbc2596fe:
	.byte	0                               ; 0x0
	.size	__hip_cuid_3a6a42bcbc2596fe, 1

	.ident	"AMD clang version 22.0.0git (https://github.com/RadeonOpenCompute/llvm-project roc-7.2.4 26084 f58b06dce1f9c15707c5f808fd002e18c2accf7e)"
	.section	".note.GNU-stack","",@progbits
	.addrsig
	.addrsig_sym __hip_cuid_3a6a42bcbc2596fe
	.amdgpu_metadata
---
amdhsa.kernels:
  - .args:
      - .offset:         0
        .size:           8
        .value_kind:     by_value
      - .actual_access:  read_only
        .address_space:  global
        .offset:         8
        .size:           8
        .value_kind:     global_buffer
      - .offset:         16
        .size:           8
        .value_kind:     by_value
      - .address_space:  global
        .offset:         24
        .size:           8
        .value_kind:     global_buffer
      - .address_space:  global
        .offset:         32
        .size:           8
        .value_kind:     global_buffer
      - .address_space:  global
        .offset:         40
        .size:           8
        .value_kind:     global_buffer
      - .address_space:  global
        .offset:         48
        .size:           8
        .value_kind:     global_buffer
      - .actual_access:  read_only
        .address_space:  global
        .offset:         56
        .size:           8
        .value_kind:     global_buffer
      - .actual_access:  read_only
        .address_space:  global
        .offset:         64
        .size:           8
        .value_kind:     global_buffer
      - .address_space:  global
        .offset:         72
        .size:           8
        .value_kind:     global_buffer
      - .actual_access:  write_only
        .address_space:  global
        .offset:         80
        .size:           8
        .value_kind:     global_buffer
    .group_segment_fixed_size: 0
    .kernarg_segment_align: 8
    .kernarg_segment_size: 88
    .language:       OpenCL C
    .language_version:
      - 2
      - 0
    .max_flat_workgroup_size: 1024
    .name:           _Z10findRangeKlPK5knodelPlS2_S2_S2_PKiS4_PiS5_
    .private_segment_fixed_size: 0
    .sgpr_count:     42
    .sgpr_spill_count: 0
    .symbol:         _Z10findRangeKlPK5knodelPlS2_S2_S2_PKiS4_PiS5_.kd
    .uniform_work_group_size: 1
    .uses_dynamic_stack: false
    .vgpr_count:     8
    .vgpr_spill_count: 0
    .wavefront_size: 64
amdhsa.target:   amdgcn-amd-amdhsa--gfx906
amdhsa.version:
  - 1
  - 2
...

	.end_amdgpu_metadata
